;; amdgpu-corpus repo=ROCm/rocFFT kind=compiled arch=gfx906 opt=O3
	.text
	.amdgcn_target "amdgcn-amd-amdhsa--gfx906"
	.amdhsa_code_object_version 6
	.protected	fft_rtc_back_len1456_factors_13_4_7_2_2_wgs_182_tpt_182_halfLds_half_ip_CI_sbrr_dirReg ; -- Begin function fft_rtc_back_len1456_factors_13_4_7_2_2_wgs_182_tpt_182_halfLds_half_ip_CI_sbrr_dirReg
	.globl	fft_rtc_back_len1456_factors_13_4_7_2_2_wgs_182_tpt_182_halfLds_half_ip_CI_sbrr_dirReg
	.p2align	8
	.type	fft_rtc_back_len1456_factors_13_4_7_2_2_wgs_182_tpt_182_halfLds_half_ip_CI_sbrr_dirReg,@function
fft_rtc_back_len1456_factors_13_4_7_2_2_wgs_182_tpt_182_halfLds_half_ip_CI_sbrr_dirReg: ; @fft_rtc_back_len1456_factors_13_4_7_2_2_wgs_182_tpt_182_halfLds_half_ip_CI_sbrr_dirReg
; %bb.0:
	s_load_dwordx2 s[2:3], s[4:5], 0x18
	s_load_dwordx4 s[8:11], s[4:5], 0x0
	s_load_dwordx2 s[14:15], s[4:5], 0x50
	v_mul_u32_u24_e32 v1, 0x169, v0
	v_add_u32_sdwa v5, s6, v1 dst_sel:DWORD dst_unused:UNUSED_PAD src0_sel:DWORD src1_sel:WORD_1
	s_waitcnt lgkmcnt(0)
	s_load_dwordx2 s[12:13], s[2:3], 0x0
	v_cmp_lt_u64_e64 s[0:1], s[10:11], 2
	v_mov_b32_e32 v3, 0
	v_mov_b32_e32 v1, 0
	;; [unrolled: 1-line block ×3, first 2 shown]
	s_and_b64 vcc, exec, s[0:1]
	v_mov_b32_e32 v2, 0
	s_cbranch_vccnz .LBB0_8
; %bb.1:
	s_load_dwordx2 s[0:1], s[4:5], 0x10
	s_add_u32 s6, s2, 8
	s_addc_u32 s7, s3, 0
	v_mov_b32_e32 v1, 0
	v_mov_b32_e32 v2, 0
	s_waitcnt lgkmcnt(0)
	s_add_u32 s16, s0, 8
	s_addc_u32 s17, s1, 0
	s_mov_b64 s[18:19], 1
.LBB0_2:                                ; =>This Inner Loop Header: Depth=1
	s_load_dwordx2 s[20:21], s[16:17], 0x0
                                        ; implicit-def: $vgpr7_vgpr8
	s_waitcnt lgkmcnt(0)
	v_or_b32_e32 v4, s21, v6
	v_cmp_ne_u64_e32 vcc, 0, v[3:4]
	s_and_saveexec_b64 s[0:1], vcc
	s_xor_b64 s[22:23], exec, s[0:1]
	s_cbranch_execz .LBB0_4
; %bb.3:                                ;   in Loop: Header=BB0_2 Depth=1
	v_cvt_f32_u32_e32 v4, s20
	v_cvt_f32_u32_e32 v7, s21
	s_sub_u32 s0, 0, s20
	s_subb_u32 s1, 0, s21
	v_mac_f32_e32 v4, 0x4f800000, v7
	v_rcp_f32_e32 v4, v4
	v_mul_f32_e32 v4, 0x5f7ffffc, v4
	v_mul_f32_e32 v7, 0x2f800000, v4
	v_trunc_f32_e32 v7, v7
	v_mac_f32_e32 v4, 0xcf800000, v7
	v_cvt_u32_f32_e32 v7, v7
	v_cvt_u32_f32_e32 v4, v4
	v_mul_lo_u32 v8, s0, v7
	v_mul_hi_u32 v9, s0, v4
	v_mul_lo_u32 v11, s1, v4
	v_mul_lo_u32 v10, s0, v4
	v_add_u32_e32 v8, v9, v8
	v_add_u32_e32 v8, v8, v11
	v_mul_hi_u32 v9, v4, v10
	v_mul_lo_u32 v11, v4, v8
	v_mul_hi_u32 v13, v4, v8
	v_mul_hi_u32 v12, v7, v10
	v_mul_lo_u32 v10, v7, v10
	v_mul_hi_u32 v14, v7, v8
	v_add_co_u32_e32 v9, vcc, v9, v11
	v_addc_co_u32_e32 v11, vcc, 0, v13, vcc
	v_mul_lo_u32 v8, v7, v8
	v_add_co_u32_e32 v9, vcc, v9, v10
	v_addc_co_u32_e32 v9, vcc, v11, v12, vcc
	v_addc_co_u32_e32 v10, vcc, 0, v14, vcc
	v_add_co_u32_e32 v8, vcc, v9, v8
	v_addc_co_u32_e32 v9, vcc, 0, v10, vcc
	v_add_co_u32_e32 v4, vcc, v4, v8
	v_addc_co_u32_e32 v7, vcc, v7, v9, vcc
	v_mul_lo_u32 v8, s0, v7
	v_mul_hi_u32 v9, s0, v4
	v_mul_lo_u32 v10, s1, v4
	v_mul_lo_u32 v11, s0, v4
	v_add_u32_e32 v8, v9, v8
	v_add_u32_e32 v8, v8, v10
	v_mul_lo_u32 v12, v4, v8
	v_mul_hi_u32 v13, v4, v11
	v_mul_hi_u32 v14, v4, v8
	;; [unrolled: 1-line block ×3, first 2 shown]
	v_mul_lo_u32 v11, v7, v11
	v_mul_hi_u32 v9, v7, v8
	v_add_co_u32_e32 v12, vcc, v13, v12
	v_addc_co_u32_e32 v13, vcc, 0, v14, vcc
	v_mul_lo_u32 v8, v7, v8
	v_add_co_u32_e32 v11, vcc, v12, v11
	v_addc_co_u32_e32 v10, vcc, v13, v10, vcc
	v_addc_co_u32_e32 v9, vcc, 0, v9, vcc
	v_add_co_u32_e32 v8, vcc, v10, v8
	v_addc_co_u32_e32 v9, vcc, 0, v9, vcc
	v_add_co_u32_e32 v4, vcc, v4, v8
	v_addc_co_u32_e32 v9, vcc, v7, v9, vcc
	v_mad_u64_u32 v[7:8], s[0:1], v5, v9, 0
	v_mul_hi_u32 v10, v5, v4
	v_add_co_u32_e32 v11, vcc, v10, v7
	v_addc_co_u32_e32 v12, vcc, 0, v8, vcc
	v_mad_u64_u32 v[7:8], s[0:1], v6, v4, 0
	v_mad_u64_u32 v[9:10], s[0:1], v6, v9, 0
	v_add_co_u32_e32 v4, vcc, v11, v7
	v_addc_co_u32_e32 v4, vcc, v12, v8, vcc
	v_addc_co_u32_e32 v7, vcc, 0, v10, vcc
	v_add_co_u32_e32 v4, vcc, v4, v9
	v_addc_co_u32_e32 v9, vcc, 0, v7, vcc
	v_mul_lo_u32 v10, s21, v4
	v_mul_lo_u32 v11, s20, v9
	v_mad_u64_u32 v[7:8], s[0:1], s20, v4, 0
	v_add3_u32 v8, v8, v11, v10
	v_sub_u32_e32 v10, v6, v8
	v_mov_b32_e32 v11, s21
	v_sub_co_u32_e32 v7, vcc, v5, v7
	v_subb_co_u32_e64 v10, s[0:1], v10, v11, vcc
	v_subrev_co_u32_e64 v11, s[0:1], s20, v7
	v_subbrev_co_u32_e64 v10, s[0:1], 0, v10, s[0:1]
	v_cmp_le_u32_e64 s[0:1], s21, v10
	v_cndmask_b32_e64 v12, 0, -1, s[0:1]
	v_cmp_le_u32_e64 s[0:1], s20, v11
	v_cndmask_b32_e64 v11, 0, -1, s[0:1]
	v_cmp_eq_u32_e64 s[0:1], s21, v10
	v_cndmask_b32_e64 v10, v12, v11, s[0:1]
	v_add_co_u32_e64 v11, s[0:1], 2, v4
	v_addc_co_u32_e64 v12, s[0:1], 0, v9, s[0:1]
	v_add_co_u32_e64 v13, s[0:1], 1, v4
	v_addc_co_u32_e64 v14, s[0:1], 0, v9, s[0:1]
	v_subb_co_u32_e32 v8, vcc, v6, v8, vcc
	v_cmp_ne_u32_e64 s[0:1], 0, v10
	v_cmp_le_u32_e32 vcc, s21, v8
	v_cndmask_b32_e64 v10, v14, v12, s[0:1]
	v_cndmask_b32_e64 v12, 0, -1, vcc
	v_cmp_le_u32_e32 vcc, s20, v7
	v_cndmask_b32_e64 v7, 0, -1, vcc
	v_cmp_eq_u32_e32 vcc, s21, v8
	v_cndmask_b32_e32 v7, v12, v7, vcc
	v_cmp_ne_u32_e32 vcc, 0, v7
	v_cndmask_b32_e64 v7, v13, v11, s[0:1]
	v_cndmask_b32_e32 v8, v9, v10, vcc
	v_cndmask_b32_e32 v7, v4, v7, vcc
.LBB0_4:                                ;   in Loop: Header=BB0_2 Depth=1
	s_andn2_saveexec_b64 s[0:1], s[22:23]
	s_cbranch_execz .LBB0_6
; %bb.5:                                ;   in Loop: Header=BB0_2 Depth=1
	v_cvt_f32_u32_e32 v4, s20
	s_sub_i32 s22, 0, s20
	v_rcp_iflag_f32_e32 v4, v4
	v_mul_f32_e32 v4, 0x4f7ffffe, v4
	v_cvt_u32_f32_e32 v4, v4
	v_mul_lo_u32 v7, s22, v4
	v_mul_hi_u32 v7, v4, v7
	v_add_u32_e32 v4, v4, v7
	v_mul_hi_u32 v4, v5, v4
	v_mul_lo_u32 v7, v4, s20
	v_add_u32_e32 v8, 1, v4
	v_sub_u32_e32 v7, v5, v7
	v_subrev_u32_e32 v9, s20, v7
	v_cmp_le_u32_e32 vcc, s20, v7
	v_cndmask_b32_e32 v7, v7, v9, vcc
	v_cndmask_b32_e32 v4, v4, v8, vcc
	v_add_u32_e32 v8, 1, v4
	v_cmp_le_u32_e32 vcc, s20, v7
	v_cndmask_b32_e32 v7, v4, v8, vcc
	v_mov_b32_e32 v8, v3
.LBB0_6:                                ;   in Loop: Header=BB0_2 Depth=1
	s_or_b64 exec, exec, s[0:1]
	v_mul_lo_u32 v4, v8, s20
	v_mul_lo_u32 v11, v7, s21
	v_mad_u64_u32 v[9:10], s[0:1], v7, s20, 0
	s_load_dwordx2 s[0:1], s[6:7], 0x0
	s_add_u32 s18, s18, 1
	v_add3_u32 v4, v10, v11, v4
	v_sub_co_u32_e32 v5, vcc, v5, v9
	v_subb_co_u32_e32 v4, vcc, v6, v4, vcc
	s_waitcnt lgkmcnt(0)
	v_mul_lo_u32 v4, s0, v4
	v_mul_lo_u32 v6, s1, v5
	v_mad_u64_u32 v[1:2], s[0:1], s0, v5, v[1:2]
	s_addc_u32 s19, s19, 0
	s_add_u32 s6, s6, 8
	v_add3_u32 v2, v6, v2, v4
	v_mov_b32_e32 v4, s10
	v_mov_b32_e32 v5, s11
	s_addc_u32 s7, s7, 0
	v_cmp_ge_u64_e32 vcc, s[18:19], v[4:5]
	s_add_u32 s16, s16, 8
	s_addc_u32 s17, s17, 0
	s_cbranch_vccnz .LBB0_9
; %bb.7:                                ;   in Loop: Header=BB0_2 Depth=1
	v_mov_b32_e32 v5, v7
	v_mov_b32_e32 v6, v8
	s_branch .LBB0_2
.LBB0_8:
	v_mov_b32_e32 v8, v6
	v_mov_b32_e32 v7, v5
.LBB0_9:
	s_lshl_b64 s[0:1], s[10:11], 3
	s_add_u32 s0, s2, s0
	s_addc_u32 s1, s3, s1
	s_load_dwordx2 s[2:3], s[0:1], 0x0
	s_load_dwordx2 s[6:7], s[4:5], 0x20
	v_mov_b32_e32 v27, 0
                                        ; implicit-def: $vgpr10
                                        ; implicit-def: $vgpr14
                                        ; implicit-def: $vgpr15
                                        ; implicit-def: $vgpr18
                                        ; implicit-def: $vgpr23
                                        ; implicit-def: $vgpr11
                                        ; implicit-def: $vgpr24
                                        ; implicit-def: $vgpr16
                                        ; implicit-def: $vgpr17
                                        ; implicit-def: $vgpr25
                                        ; implicit-def: $vgpr19
                                        ; implicit-def: $vgpr26
                                        ; implicit-def: $vgpr20
                                        ; implicit-def: $vgpr28
                                        ; implicit-def: $vgpr21
                                        ; implicit-def: $vgpr30
                                        ; implicit-def: $vgpr22
                                        ; implicit-def: $vgpr29
	s_waitcnt lgkmcnt(0)
	v_mad_u64_u32 v[1:2], s[0:1], s2, v7, v[1:2]
	s_mov_b32 s0, 0x1681682
	v_mul_lo_u32 v3, s2, v8
	v_mul_lo_u32 v4, s3, v7
	v_mul_hi_u32 v5, v0, s0
	v_cmp_gt_u64_e32 vcc, s[6:7], v[7:8]
	s_movk_i32 s0, 0x70
	v_add3_u32 v2, v4, v2, v3
	v_mul_u32_u24_e32 v3, 0xb6, v5
	v_sub_u32_e32 v6, v0, v3
	v_cmp_gt_u32_e64 s[0:1], s0, v6
	v_lshlrev_b64 v[8:9], 2, v[1:2]
	s_and_b64 s[2:3], vcc, s[0:1]
	v_mov_b32_e32 v0, 0
                                        ; implicit-def: $vgpr1
                                        ; implicit-def: $vgpr2
                                        ; implicit-def: $vgpr3
                                        ; implicit-def: $vgpr4
                                        ; implicit-def: $vgpr5
	s_and_saveexec_b64 s[4:5], s[2:3]
	s_cbranch_execz .LBB0_11
; %bb.10:
	v_mad_u64_u32 v[0:1], s[2:3], s12, v6, 0
	v_add_u32_e32 v5, 0x70, v6
	v_mov_b32_e32 v4, s15
	v_mad_u64_u32 v[1:2], s[2:3], s13, v6, v[1:2]
	v_mad_u64_u32 v[2:3], s[2:3], s12, v5, 0
	v_add_co_u32_e64 v37, s[2:3], s14, v8
	v_addc_co_u32_e64 v38, s[2:3], v4, v9, s[2:3]
	v_mad_u64_u32 v[3:4], s[2:3], s13, v5, v[3:4]
	v_add_u32_e32 v7, 0xe0, v6
	v_mad_u64_u32 v[4:5], s[2:3], s12, v7, 0
	v_lshlrev_b64 v[0:1], 2, v[0:1]
	v_add_u32_e32 v13, 0x150, v6
	v_add_co_u32_e64 v0, s[2:3], v37, v0
	v_addc_co_u32_e64 v1, s[2:3], v38, v1, s[2:3]
	v_mad_u64_u32 v[10:11], s[2:3], s13, v7, v[5:6]
	v_mad_u64_u32 v[11:12], s[2:3], s12, v13, 0
	v_lshlrev_b64 v[2:3], 2, v[2:3]
	v_add_u32_e32 v15, 0x1c0, v6
	v_add_co_u32_e64 v2, s[2:3], v37, v2
	v_mov_b32_e32 v7, v12
	v_addc_co_u32_e64 v3, s[2:3], v38, v3, s[2:3]
	v_mad_u64_u32 v[12:13], s[2:3], s13, v13, v[7:8]
	v_mad_u64_u32 v[13:14], s[2:3], s12, v15, 0
	v_mov_b32_e32 v5, v10
	v_lshlrev_b64 v[4:5], 2, v[4:5]
	v_mov_b32_e32 v7, v14
	v_add_co_u32_e64 v4, s[2:3], v37, v4
	v_addc_co_u32_e64 v5, s[2:3], v38, v5, s[2:3]
	v_lshlrev_b64 v[10:11], 2, v[11:12]
	v_mad_u64_u32 v[14:15], s[2:3], s13, v15, v[7:8]
	v_add_u32_e32 v12, 0x230, v6
	v_mad_u64_u32 v[15:16], s[2:3], s12, v12, 0
	v_add_co_u32_e64 v19, s[2:3], v37, v10
	v_mov_b32_e32 v7, v16
	v_addc_co_u32_e64 v20, s[2:3], v38, v11, s[2:3]
	v_lshlrev_b64 v[10:11], 2, v[13:14]
	v_mad_u64_u32 v[12:13], s[2:3], s13, v12, v[7:8]
	v_add_u32_e32 v17, 0x2a0, v6
	v_mad_u64_u32 v[13:14], s[2:3], s12, v17, 0
	v_add_co_u32_e64 v21, s[2:3], v37, v10
	v_mov_b32_e32 v16, v12
	v_mov_b32_e32 v7, v14
	v_addc_co_u32_e64 v22, s[2:3], v38, v11, s[2:3]
	v_lshlrev_b64 v[10:11], 2, v[15:16]
	v_mad_u64_u32 v[14:15], s[2:3], s13, v17, v[7:8]
	v_add_u32_e32 v12, 0x310, v6
	v_mad_u64_u32 v[15:16], s[2:3], s12, v12, 0
	v_add_co_u32_e64 v25, s[2:3], v37, v10
	v_mov_b32_e32 v7, v16
	v_addc_co_u32_e64 v26, s[2:3], v38, v11, s[2:3]
	v_lshlrev_b64 v[10:11], 2, v[13:14]
	v_mad_u64_u32 v[12:13], s[2:3], s13, v12, v[7:8]
	v_or_b32_e32 v17, 0x380, v6
	v_mad_u64_u32 v[13:14], s[2:3], s12, v17, 0
	v_add_co_u32_e64 v27, s[2:3], v37, v10
	v_mov_b32_e32 v16, v12
	v_mov_b32_e32 v7, v14
	v_addc_co_u32_e64 v28, s[2:3], v38, v11, s[2:3]
	v_lshlrev_b64 v[10:11], 2, v[15:16]
	v_mad_u64_u32 v[14:15], s[2:3], s13, v17, v[7:8]
	v_add_u32_e32 v12, 0x3f0, v6
	v_mad_u64_u32 v[15:16], s[2:3], s12, v12, 0
	v_add_co_u32_e64 v29, s[2:3], v37, v10
	v_mov_b32_e32 v7, v16
	v_addc_co_u32_e64 v30, s[2:3], v38, v11, s[2:3]
	v_lshlrev_b64 v[10:11], 2, v[13:14]
	v_mad_u64_u32 v[12:13], s[2:3], s13, v12, v[7:8]
	v_add_u32_e32 v17, 0x460, v6
	v_mad_u64_u32 v[13:14], s[2:3], s12, v17, 0
	v_add_co_u32_e64 v31, s[2:3], v37, v10
	v_mov_b32_e32 v16, v12
	v_mov_b32_e32 v7, v14
	v_addc_co_u32_e64 v32, s[2:3], v38, v11, s[2:3]
	v_lshlrev_b64 v[10:11], 2, v[15:16]
	v_mad_u64_u32 v[14:15], s[2:3], s13, v17, v[7:8]
	v_add_u32_e32 v12, 0x4d0, v6
	v_mad_u64_u32 v[15:16], s[2:3], s12, v12, 0
	v_add_co_u32_e64 v33, s[2:3], v37, v10
	v_mov_b32_e32 v7, v16
	v_addc_co_u32_e64 v34, s[2:3], v38, v11, s[2:3]
	v_lshlrev_b64 v[10:11], 2, v[13:14]
	v_mad_u64_u32 v[12:13], s[2:3], s13, v12, v[7:8]
	v_add_u32_e32 v17, 0x540, v6
	v_mad_u64_u32 v[13:14], s[2:3], s12, v17, 0
	v_add_co_u32_e64 v35, s[2:3], v37, v10
	v_mov_b32_e32 v16, v12
	v_mov_b32_e32 v7, v14
	v_addc_co_u32_e64 v36, s[2:3], v38, v11, s[2:3]
	v_lshlrev_b64 v[10:11], 2, v[15:16]
	v_mad_u64_u32 v[14:15], s[2:3], s13, v17, v[7:8]
	v_add_co_u32_e64 v16, s[2:3], v37, v10
	v_addc_co_u32_e64 v17, s[2:3], v38, v11, s[2:3]
	v_lshlrev_b64 v[11:12], 2, v[13:14]
	global_load_dword v7, v[0:1], off
	global_load_dword v10, v[2:3], off
	;; [unrolled: 1-line block ×8, first 2 shown]
	v_add_co_u32_e64 v0, s[2:3], v37, v11
	v_addc_co_u32_e64 v1, s[2:3], v38, v12, s[2:3]
	global_load_dword v25, v[31:32], off
	global_load_dword v26, v[33:34], off
	;; [unrolled: 1-line block ×5, first 2 shown]
	s_mov_b32 s2, 0x5040100
	s_waitcnt vmcnt(12)
	v_lshrrev_b32_e32 v0, 16, v7
	s_waitcnt vmcnt(11)
	v_lshrrev_b32_e32 v1, 16, v10
	;; [unrolled: 2-line block ×7, first 2 shown]
	s_waitcnt vmcnt(5)
	v_perm_b32 v27, v7, v13, s2
	v_lshrrev_b32_e32 v16, 16, v13
	s_waitcnt vmcnt(4)
	v_lshrrev_b32_e32 v17, 16, v25
	s_waitcnt vmcnt(3)
	;; [unrolled: 2-line block ×5, first 2 shown]
	v_lshrrev_b32_e32 v21, 16, v30
.LBB0_11:
	s_or_b64 exec, exec, s[4:5]
	v_sub_f16_e32 v55, v1, v21
	v_add_f16_e32 v31, v10, v30
	s_movk_i32 s2, 0x2fb7
	v_mul_f16_e32 v37, 0xbbf1, v55
	v_sub_f16_e32 v56, v2, v20
	v_fma_f16 v7, v31, s2, -v37
	v_add_f16_e32 v32, v14, v28
	s_mov_b32 s2, 0xbbc4
	v_mul_f16_e32 v36, 0xb3a8, v56
	v_sub_f16_e32 v58, v3, v22
	v_add_f16_sdwa v7, v27, v7 dst_sel:DWORD dst_unused:UNUSED_PAD src0_sel:WORD_1 src1_sel:DWORD
	v_fma_f16 v12, v32, s2, -v36
	v_add_f16_e32 v35, v15, v29
	s_mov_b32 s2, 0xb5ac
	v_mul_f16_e32 v33, 0x3b7b, v58
	v_sub_f16_e32 v59, v4, v19
	v_add_f16_e32 v7, v12, v7
	v_fma_f16 v12, v35, s2, -v33
	s_movk_i32 s2, 0x3b15
	v_add_f16_e32 v39, v18, v26
	v_mul_f16_e32 v34, 0x3770, v59
	v_sub_f16_e32 v57, v5, v17
	v_add_f16_e32 v7, v7, v12
	v_fma_f16 v12, v39, s2, -v34
	s_movk_i32 s2, 0x388b
	v_add_f16_e32 v40, v23, v25
	v_mul_f16_e32 v38, 0xba95, v57
	v_add_f16_e32 v7, v12, v7
	v_fma_f16 v12, v40, s2, -v38
	s_mov_b32 s2, 0xb770ba95
	s_mov_b32 s4, 0x3b15388b
	v_pk_mul_f16 v50, v55, s2 op_sel_hi:[0,1]
	s_mov_b32 s16, 0xba95bb7b
	v_add_f16_e32 v12, v12, v7
	v_pk_fma_f16 v7, v31, s4, v50 op_sel_hi:[0,1,1] neg_lo:[0,0,1] neg_hi:[0,0,1]
	s_mov_b32 s5, 0x388bb5ac
	v_pk_mul_f16 v47, v56, s16 op_sel_hi:[0,1]
	s_mov_b32 s2, 0xbbf1b3a8
	v_pk_add_f16 v7, v27, v7 op_sel:[1,0]
	v_pk_fma_f16 v13, v32, s5, v47 op_sel_hi:[0,1,1] neg_lo:[0,0,1] neg_hi:[0,0,1]
	s_mov_b32 s6, 0x2fb7bbc4
	v_pk_mul_f16 v41, v58, s2 op_sel_hi:[0,1]
	s_mov_b32 s17, 0xbb7b394e
	v_pk_add_f16 v7, v13, v7
	v_pk_fma_f16 v13, v35, s6, v41 op_sel_hi:[0,1,1] neg_lo:[0,0,1] neg_hi:[0,0,1]
	s_mov_b32 s7, 0xb5acb9fd
	v_pk_mul_f16 v42, v59, s17 op_sel_hi:[0,1]
	s_mov_b32 s2, 0xb94e3bf1
	v_pk_add_f16 v7, v7, v13
	v_pk_fma_f16 v13, v39, s7, v42 op_sel_hi:[0,1,1] neg_lo:[0,0,1] neg_hi:[0,0,1]
	s_mov_b32 s10, 0xb9fd2fb7
	v_pk_mul_f16 v43, v57, s2 op_sel_hi:[0,1]
	s_mov_b32 s18, 0xb3a83770
	v_sub_f16_e32 v60, v11, v16
	v_pk_add_f16 v7, v13, v7
	v_pk_fma_f16 v13, v40, s10, v43 op_sel_hi:[0,1,1] neg_lo:[0,0,1] neg_hi:[0,0,1]
	s_mov_b32 s11, 0xbbc43b15
	v_add_f16_e32 v54, v24, v27
	v_pk_mul_f16 v44, v60, s18 op_sel_hi:[0,1]
	v_pk_add_f16 v7, v13, v7
	v_pk_fma_f16 v13, v54, s11, v44 op_sel_hi:[0,1,1] neg_lo:[0,0,1] neg_hi:[0,0,1]
	s_mov_b32 s2, 0xb9fd
	v_mul_f16_e32 v45, 0xb94e, v60
	v_pk_add_f16 v7, v13, v7
	v_fma_f16 v13, v54, s2, -v45
	s_mov_b32 s2, 0xbb7bb94e
	v_pk_mul_f16 v46, v55, s2 op_sel_hi:[0,1]
	s_mov_b32 s2, 0x394e3bf1
	v_add_f16_e32 v12, v13, v12
	v_pk_fma_f16 v13, v31, s7, v46 op_sel_hi:[0,1,1] neg_lo:[0,0,1] neg_hi:[0,0,1]
	v_pk_mul_f16 v48, v56, s2 op_sel_hi:[0,1]
	v_pk_add_f16 v13, v27, v13 op_sel:[1,0]
	v_pk_fma_f16 v49, v32, s10, v48 op_sel_hi:[0,1,1] neg_lo:[0,0,1] neg_hi:[0,0,1]
	s_mov_b32 s2, 0x3770ba95
	v_pk_add_f16 v13, v49, v13
	v_pk_mul_f16 v49, v58, s2 op_sel_hi:[0,1]
	v_pk_fma_f16 v51, v35, s4, v49 op_sel_hi:[0,1,1] neg_lo:[0,0,1] neg_hi:[0,0,1]
	s_mov_b32 s2, 0xbbf133a8
	v_pk_add_f16 v13, v13, v51
	v_pk_mul_f16 v51, v59, s2 op_sel_hi:[0,1]
	;; [unrolled: 4-line block ×4, first 2 shown]
	v_pk_fma_f16 v61, v54, s5, v53 op_sel_hi:[0,1,1] neg_lo:[0,0,1] neg_hi:[0,0,1]
	v_pk_add_f16 v13, v61, v13
	s_mov_b32 s22, 0xbbf1
	s_mov_b32 s21, 0xb3a8
	s_movk_i32 s23, 0x3b7b
	s_movk_i32 s20, 0x3770
	s_mov_b32 s24, 0xba95
	s_mov_b32 s19, 0xb94e
	s_and_saveexec_b64 s[2:3], s[0:1]
	s_cbranch_execz .LBB0_13
; %bb.12:
	v_mul_f16_e32 v61, 0xbbc4, v31
	s_movk_i32 s25, 0x33a8
	v_fma_f16 v62, v55, s25, v61
	v_mul_f16_e32 v63, 0x3b15, v32
	s_mov_b32 s25, 0xb770
	v_add_f16_sdwa v62, v27, v62 dst_sel:DWORD dst_unused:UNUSED_PAD src0_sel:WORD_1 src1_sel:DWORD
	v_fma_f16 v64, v56, s25, v63
	v_add_f16_e32 v62, v64, v62
	v_mul_f16_e32 v64, 0xb9fd, v35
	s_movk_i32 s25, 0x394e
	v_fma_f16 v65, v58, s25, v64
	v_add_f16_e32 v62, v62, v65
	v_mul_f16_e32 v65, 0x388b, v39
	v_fma_f16 v55, v55, s21, v61
	v_fma_f16 v66, v59, s24, v65
	;; [unrolled: 1-line block ×3, first 2 shown]
	v_add_f16_sdwa v55, v27, v55 dst_sel:DWORD dst_unused:UNUSED_PAD src0_sel:WORD_1 src1_sel:DWORD
	v_add_f16_e32 v62, v66, v62
	v_mul_f16_e32 v66, 0xb5ac, v40
	v_add_f16_e32 v55, v56, v55
	v_fma_f16 v58, v58, s19, v64
	s_movk_i32 s19, 0x3a95
	v_fma_f16 v67, v57, s23, v66
	v_add_f16_e32 v55, v55, v58
	v_fma_f16 v59, v59, s19, v65
	s_mov_b32 s19, 0xbb7b
	v_add_f16_e32 v62, v67, v62
	v_mul_f16_e32 v67, 0x2fb7, v54
	v_add_f16_e32 v55, v59, v55
	v_fma_f16 v57, v57, s19, v66
	s_movk_i32 s19, 0x3bf1
	v_fma_f16 v68, v60, s22, v67
	v_add_f16_e32 v55, v57, v55
	v_fma_f16 v60, v60, s19, v67
	v_add_f16_e32 v55, v60, v55
	v_add_f16_sdwa v60, v27, v10 dst_sel:DWORD dst_unused:UNUSED_PAD src0_sel:WORD_1 src1_sel:DWORD
	v_add_f16_e32 v60, v60, v14
	v_add_f16_e32 v60, v60, v15
	v_add_f16_e32 v60, v60, v18
	v_pk_mul_f16 v58, v31, s4 op_sel_hi:[0,1]
	v_add_f16_e32 v60, v60, v23
	s_mov_b32 s19, 0xffff
	v_pk_mul_f16 v64, v32, s5 op_sel_hi:[0,1]
	v_bfi_b32 v60, s19, v60, v50
	v_bfi_b32 v66, s19, v24, v58
	v_pk_add_f16 v60, v60, v66
	v_pk_add_f16 v66, v47, v64
	v_pk_mul_f16 v59, v35, s6 op_sel_hi:[0,1]
	v_pk_add_f16 v60, v60, v27
	v_bfi_b32 v66, s19, v25, v66
	v_pk_add_f16 v60, v60, v66
	v_pk_add_f16 v66, v41, v59
	v_pk_mul_f16 v65, v39, s7 op_sel_hi:[0,1]
	v_bfi_b32 v66, s19, v26, v66
	v_mul_f16_e32 v61, 0x2fb7, v31
	v_pk_add_f16 v60, v60, v66
	v_pk_add_f16 v66, v42, v65
	s_mov_b32 s20, 0x5040100
	v_pk_mul_f16 v57, v40, s10 op_sel_hi:[0,1]
	v_bfi_b32 v66, s19, v29, v66
	v_perm_b32 v37, v37, v50, s20
	v_perm_b32 v58, v61, v58, s20
	v_mul_f16_e32 v56, 0xbbc4, v32
	v_pk_add_f16 v60, v60, v66
	v_pk_add_f16 v66, v43, v57
	s_mov_b32 s21, 0x7060302
	v_pk_add_f16 v37, v37, v58
	v_pk_mul_f16 v58, v54, s11 op_sel_hi:[0,1]
	v_add_f16_e32 v62, v68, v62
	v_bfi_b32 v66, s19, v28, v66
	v_perm_b32 v61, v27, v27, s21
	v_perm_b32 v36, v36, v47, s20
	v_pk_mul_f16 v67, v31, s7 op_sel_hi:[0,1]
	v_pk_mul_f16 v68, v32, s10 op_sel_hi:[0,1]
	v_perm_b32 v31, v56, v64, s20
	v_pk_add_f16 v32, v44, v58
	v_mul_f16_e32 v63, 0xb5ac, v35
	v_pk_add_f16 v60, v66, v60
	v_pk_add_f16 v31, v36, v31
	v_bfi_b32 v32, s19, v30, v32
	v_pk_add_f16 v37, v61, v37
	v_mul_f16_e32 v66, 0x3b15, v39
	v_pk_add_f16 v37, v31, v37
	v_perm_b32 v33, v33, v41, s20
	v_pk_add_f16 v31, v32, v60
	v_perm_b32 v32, v63, v59, s20
	v_pk_add_f16 v32, v33, v32
	v_perm_b32 v33, v34, v42, s20
	v_perm_b32 v34, v66, v65, s20
	v_mul_f16_e32 v50, 0x388b, v40
	v_pk_add_f16 v32, v37, v32
	v_pk_add_f16 v33, v33, v34
	;; [unrolled: 1-line block ×3, first 2 shown]
	v_perm_b32 v33, v38, v43, s20
	v_perm_b32 v34, v50, v57, s20
	v_mul_f16_e32 v47, 0xb9fd, v54
	v_pk_add_f16 v33, v33, v34
	v_pk_add_f16 v32, v33, v32
	v_perm_b32 v33, v45, v44, s20
	v_perm_b32 v34, v47, v58, s20
	v_pk_add_f16 v33, v33, v34
	v_pk_add_f16 v32, v33, v32
	;; [unrolled: 1-line block ×3, first 2 shown]
	v_pk_mul_f16 v35, v35, s4 op_sel_hi:[0,1]
	v_pk_add_f16 v33, v61, v33
	v_pk_add_f16 v34, v48, v68
	v_pk_mul_f16 v39, v39, s6 op_sel_hi:[0,1]
	v_pk_add_f16 v33, v34, v33
	v_pk_add_f16 v34, v49, v35
	;; [unrolled: 3-line block ×4, first 2 shown]
	v_pk_add_f16 v33, v34, v33
	v_pk_add_f16 v34, v53, v54
	;; [unrolled: 1-line block ×3, first 2 shown]
	v_mad_u32_u24 v36, v6, 26, 0
	v_pack_b32_f16 v34, v55, v62
	v_alignbit_b32 v33, v33, v33, 16
	ds_write_b128 v36, v[31:34]
	ds_write_b32 v36, v13 offset:16
	ds_write_b16 v36, v12 offset:20
	ds_write_b32 v36, v7 offset:22
.LBB0_13:
	s_or_b64 exec, exec, s[2:3]
	v_sub_f16_e32 v60, v10, v30
	s_mov_b32 s2, 0xbbf1b770
	v_add_f16_e32 v49, v1, v21
	v_sub_f16_e32 v59, v14, v28
	s_mov_b32 s19, 0x2fb73b15
	v_pk_mul_f16 v31, v60, s2 op_sel_hi:[0,1]
	s_mov_b32 s2, 0xb3a8ba95
	v_add_f16_e32 v50, v2, v20
	v_sub_f16_e32 v58, v15, v29
	v_pk_fma_f16 v10, v49, s19, v31 op_sel_hi:[0,1,1]
	s_mov_b32 s20, 0xbbc4388b
	v_pk_mul_f16 v32, v59, s2 op_sel_hi:[0,1]
	s_mov_b32 s2, 0x3b7bbbf1
	v_add_f16_e32 v51, v3, v22
	v_sub_f16_e32 v57, v18, v26
	v_pk_add_f16 v10, v0, v10 op_sel_hi:[0,1]
	v_pk_fma_f16 v14, v50, s20, v32 op_sel_hi:[0,1,1]
	s_mov_b32 s21, 0xb5ac2fb7
	v_pk_mul_f16 v33, v58, s2 op_sel_hi:[0,1]
	s_mov_b32 s2, 0x3770bb7b
	v_add_f16_e32 v52, v4, v19
	v_sub_f16_e32 v56, v23, v25
	v_pk_add_f16 v10, v14, v10
	v_pk_fma_f16 v14, v51, s21, v33 op_sel_hi:[0,1,1]
	s_mov_b32 s22, 0x3b15b5ac
	v_pk_mul_f16 v34, v57, s2 op_sel_hi:[0,1]
	s_mov_b32 s2, 0xba95b94e
	v_add_f16_e32 v53, v5, v17
	v_sub_f16_e32 v55, v24, v27
	v_pk_add_f16 v10, v10, v14
	v_pk_fma_f16 v14, v52, s22, v34 op_sel_hi:[0,1,1]
	s_mov_b32 s23, 0x388bb9fd
	v_pk_mul_f16 v35, v56, s2 op_sel_hi:[0,1]
	s_mov_b32 s2, 0xb94eb3a8
	v_add_f16_e32 v54, v11, v16
	v_pk_add_f16 v10, v14, v10
	v_pk_fma_f16 v14, v53, s23, v35 op_sel_hi:[0,1,1]
	s_mov_b32 s24, 0xb9fdbbc4
	v_pk_mul_f16 v36, v55, s2 op_sel_hi:[0,1]
	v_pk_add_f16 v10, v14, v10
	v_pk_fma_f16 v14, v54, s24, v36 op_sel_hi:[0,1,1]
	v_pk_mul_f16 v42, v60, s16 op_sel_hi:[0,1]
	v_pk_add_f16 v14, v14, v10
	v_pk_fma_f16 v10, v49, s5, v42 op_sel_hi:[0,1,1]
	v_pk_mul_f16 v41, v59, s17 op_sel_hi:[0,1]
	v_pk_add_f16 v10, v0, v10 op_sel_hi:[0,1]
	v_pk_fma_f16 v15, v50, s7, v41 op_sel_hi:[0,1,1]
	v_pk_mul_f16 v37, v58, s18 op_sel_hi:[0,1]
	s_mov_b32 s2, 0x394ebbf1
	v_pk_add_f16 v10, v15, v10
	v_pk_fma_f16 v15, v51, s11, v37 op_sel_hi:[0,1,1]
	v_pk_mul_f16 v38, v57, s2 op_sel_hi:[0,1]
	s_mov_b32 s2, 0x3bf133a8
	v_pk_add_f16 v10, v10, v15
	;; [unrolled: 4-line block ×4, first 2 shown]
	v_pk_fma_f16 v15, v54, s4, v40 op_sel_hi:[0,1,1]
	s_mov_b32 s16, 0xbbc4b9fd
	v_pk_mul_f16 v43, v60, s2 op_sel_hi:[0,1]
	s_mov_b32 s2, 0x37703bf1
	v_pk_add_f16 v15, v15, v10
	s_mov_b32 s17, 0x3b152fb7
	v_pk_mul_f16 v44, v59, s2 op_sel_hi:[0,1]
	s_mov_b32 s2, 0xb94eba95
	v_pk_fma_f16 v10, v49, s16, v43 op_sel_hi:[0,1,1]
	s_mov_b32 s18, 0xb9fd388b
	v_pk_mul_f16 v45, v58, s2 op_sel_hi:[0,1]
	s_mov_b32 s2, 0x3a9533a8
	v_pk_add_f16 v10, v0, v10 op_sel_hi:[0,1]
	v_pk_fma_f16 v18, v50, s17, v44 op_sel_hi:[0,1,1]
	s_mov_b32 s25, 0x388bbbc4
	v_pk_mul_f16 v46, v57, s2 op_sel_hi:[0,1]
	s_mov_b32 s2, 0xbb7b3770
	v_pk_add_f16 v10, v18, v10
	v_pk_fma_f16 v18, v51, s18, v45 op_sel_hi:[0,1,1]
	s_mov_b32 s26, 0xb5ac3b15
	v_pk_mul_f16 v47, v56, s2 op_sel_hi:[0,1]
	v_pk_add_f16 v10, v10, v18
	v_pk_fma_f16 v18, v52, s25, v46 op_sel_hi:[0,1,1]
	v_pk_add_f16 v10, v18, v10
	v_pk_fma_f16 v18, v53, s26, v47 op_sel_hi:[0,1,1]
	v_pk_add_f16 v18, v18, v10
	v_lshl_add_u32 v10, v6, 1, 0
	s_waitcnt lgkmcnt(0)
	s_barrier
	ds_read_u16 v25, v10
	ds_read_u16 v27, v10 offset:2548
	ds_read_u16 v28, v10 offset:2184
	;; [unrolled: 1-line block ×7, first 2 shown]
	s_mov_b32 s2, 0x3bf1bb7b
	s_mov_b32 s27, 0x2fb7b5ac
	v_pk_mul_f16 v48, v55, s2 op_sel_hi:[0,1]
	v_pk_fma_f16 v61, v54, s27, v48 op_sel_hi:[0,1,1]
	v_pk_add_f16 v18, v61, v18
	s_waitcnt lgkmcnt(0)
	s_barrier
	s_and_saveexec_b64 s[2:3], s[0:1]
	s_cbranch_execz .LBB0_15
; %bb.14:
	s_mov_b32 s0, 0x5040100
	v_perm_b32 v63, v0, v0, s0
	v_add_f16_e32 v0, v0, v1
	v_add_f16_e32 v0, v0, v2
	;; [unrolled: 1-line block ×10, first 2 shown]
	v_pack_b32_f16 v60, v60, v60
	v_add_f16_e32 v0, v20, v0
	s_mov_b32 s1, 0x3a953770
	v_pack_b32_f16 v61, v49, v49
	v_pack_b32_f16 v59, v59, v59
	v_add_f16_e32 v3, v21, v0
	s_mov_b32 s0, 0x388b3b15
	v_pk_mul_f16 v0, v60, s1
	s_mov_b32 s1, 0x3b7b3a95
	v_pack_b32_f16 v64, v50, v50
	v_pk_fma_f16 v0, v61, s0, v0
	s_mov_b32 s0, 0xb5ac388b
	v_pk_mul_f16 v1, v59, s1
	v_pack_b32_f16 v58, v58, v58
	v_pk_add_f16 v0, v63, v0
	v_pk_fma_f16 v1, v64, s0, v1
	s_mov_b32 s1, 0x33a83bf1
	v_pack_b32_f16 v66, v51, v51
	v_pk_add_f16 v0, v1, v0
	s_mov_b32 s0, 0xbbc42fb7
	v_pk_mul_f16 v1, v58, s1
	v_pack_b32_f16 v57, v57, v57
	v_pk_fma_f16 v1, v66, s0, v1
	s_mov_b32 s1, 0xb94e3b7b
	v_pack_b32_f16 v68, v52, v52
	v_pk_add_f16 v0, v0, v1
	s_mov_b32 s0, 0xb9fdb5ac
	v_pk_mul_f16 v1, v57, s1
	v_pack_b32_f16 v56, v56, v56
	;; [unrolled: 7-line block ×3, first 2 shown]
	v_pk_fma_f16 v1, v70, s0, v1
	s_mov_b32 s1, 0xb77033a8
	v_pack_b32_f16 v72, v54, v54
	v_pk_add_f16 v0, v1, v0
	s_mov_b32 s0, 0x3b15bbc4
	v_pk_mul_f16 v1, v55, s1
	v_pk_mul_f16 v62, v49, s19 op_sel_hi:[0,1]
	v_pk_mul_f16 v74, v49, s5 op_sel_hi:[0,1]
	v_pk_fma_f16 v1, v72, s0, v1
	v_pk_mul_f16 v65, v50, s20 op_sel_hi:[0,1]
	v_pk_mul_f16 v75, v50, s7 op_sel_hi:[0,1]
	v_pk_add_f16 v0, v1, v0
	v_alignbit_b32 v1, v74, v62, 16
	v_alignbit_b32 v2, v42, v31, 16
	v_pk_add_f16 v1, v1, v2 neg_lo:[0,1] neg_hi:[0,1]
	v_alignbit_b32 v2, v75, v65, 16
	v_alignbit_b32 v4, v41, v32, 16
	v_pk_mul_f16 v67, v51, s21 op_sel_hi:[0,1]
	v_pk_mul_f16 v76, v51, s11 op_sel_hi:[0,1]
	v_pk_add_f16 v1, v63, v1
	v_pk_add_f16 v2, v2, v4 neg_lo:[0,1] neg_hi:[0,1]
	v_pk_add_f16 v1, v2, v1
	v_alignbit_b32 v2, v76, v67, 16
	v_alignbit_b32 v4, v37, v33, 16
	v_pk_mul_f16 v69, v52, s22 op_sel_hi:[0,1]
	v_pk_mul_f16 v77, v52, s10 op_sel_hi:[0,1]
	v_pk_add_f16 v2, v2, v4 neg_lo:[0,1] neg_hi:[0,1]
	v_pk_add_f16 v1, v1, v2
	v_alignbit_b32 v2, v77, v69, 16
	v_alignbit_b32 v4, v38, v34, 16
	v_pk_mul_f16 v71, v53, s23 op_sel_hi:[0,1]
	v_pk_mul_f16 v78, v53, s6 op_sel_hi:[0,1]
	;; [unrolled: 6-line block ×3, first 2 shown]
	v_pk_add_f16 v2, v2, v4 neg_lo:[0,1] neg_hi:[0,1]
	v_pk_add_f16 v1, v2, v1
	v_alignbit_b32 v2, v79, v73, 16
	v_alignbit_b32 v4, v40, v36, 16
	v_pk_mul_f16 v49, v49, s16 op_sel_hi:[0,1]
	v_pk_add_f16 v2, v2, v4 neg_lo:[0,1] neg_hi:[0,1]
	v_pk_mul_f16 v50, v50, s17 op_sel_hi:[0,1]
	v_pk_add_f16 v1, v2, v1
	v_pk_add_f16 v2, v49, v43 neg_lo:[0,1] neg_hi:[0,1]
	v_pk_mul_f16 v51, v51, s18 op_sel_hi:[0,1]
	v_pk_add_f16 v2, v63, v2
	;; [unrolled: 3-line block ×5, first 2 shown]
	v_pk_add_f16 v4, v53, v47 neg_lo:[0,1] neg_hi:[0,1]
	v_pk_add_f16 v2, v4, v2
	v_pk_add_f16 v4, v54, v48 neg_lo:[0,1] neg_hi:[0,1]
	v_pk_add_f16 v2, v4, v2
	v_mad_u32_u24 v4, v6, 24, v10
	ds_write_b16 v4, v3
	v_alignbit_b32 v3, v18, v18, 16
	s_mov_b32 s0, 0xffff
	ds_write_b128 v4, v[0:3] offset:2
	v_bfi_b32 v0, s0, v15, v14
	v_alignbit_b32 v1, v14, v15, 16
	ds_write_b64 v4, v[0:1] offset:18
.LBB0_15:
	s_or_b64 exec, exec, s[2:3]
	s_movk_i32 s0, 0x4f
	v_add_u32_e32 v11, 0xb6, v6
	v_mul_lo_u16_sdwa v0, v6, s0 dst_sel:DWORD dst_unused:UNUSED_PAD src0_sel:BYTE_0 src1_sel:DWORD
	s_movk_i32 s0, 0x4ec5
	v_mul_u32_u24_sdwa v1, v11, s0 dst_sel:DWORD dst_unused:UNUSED_PAD src0_sel:WORD_0 src1_sel:DWORD
	v_lshrrev_b16_e32 v16, 10, v0
	v_lshrrev_b32_e32 v19, 18, v1
	v_mul_lo_u16_e32 v0, 13, v16
	v_mul_lo_u16_e32 v3, 13, v19
	v_sub_u16_e32 v17, v6, v0
	v_mov_b32_e32 v0, 3
	v_sub_u16_e32 v20, v11, v3
	v_mul_u32_u24_sdwa v0, v17, v0 dst_sel:DWORD dst_unused:UNUSED_PAD src0_sel:BYTE_0 src1_sel:DWORD
	v_mul_u32_u24_e32 v3, 3, v20
	v_lshlrev_b32_e32 v0, 2, v0
	v_lshlrev_b32_e32 v3, 2, v3
	s_waitcnt lgkmcnt(0)
	s_barrier
	global_load_dwordx3 v[0:2], v0, s[8:9]
	v_mov_b32_e32 v35, 1
	global_load_dwordx3 v[3:5], v3, s[8:9]
	ds_read_u16 v31, v10
	ds_read_u16 v21, v10 offset:2548
	ds_read_u16 v22, v10 offset:2184
	;; [unrolled: 1-line block ×7, first 2 shown]
	v_mul_u32_u24_e32 v16, 0x68, v16
	v_mul_u32_u24_e32 v19, 0x68, v19
	v_lshlrev_b32_sdwa v17, v35, v17 dst_sel:DWORD dst_unused:UNUSED_PAD src0_sel:DWORD src1_sel:BYTE_0
	v_lshlrev_b32_e32 v20, 1, v20
	v_add3_u32 v36, 0, v16, v17
	v_add3_u32 v35, 0, v19, v20
	s_waitcnt vmcnt(0) lgkmcnt(0)
	s_barrier
	v_cmp_gt_u32_e64 s[0:1], 26, v6
	v_mul_f16_sdwa v16, v38, v0 dst_sel:DWORD dst_unused:UNUSED_PAD src0_sel:DWORD src1_sel:WORD_1
	v_mul_f16_sdwa v17, v30, v0 dst_sel:DWORD dst_unused:UNUSED_PAD src0_sel:DWORD src1_sel:WORD_1
	;; [unrolled: 1-line block ×10, first 2 shown]
	v_fma_f16 v16, v30, v0, v16
	v_fma_f16 v30, v38, v0, -v17
	v_fma_f16 v17, v24, v1, v19
	v_fma_f16 v19, v28, v2, v20
	v_fma_f16 v2, v22, v2, -v39
	v_fma_f16 v20, v29, v3, v40
	v_fma_f16 v0, v37, v3, -v41
	v_fma_f16 v3, v23, v4, v42
	v_fma_f16 v22, v27, v5, v43
	v_fma_f16 v5, v21, v5, -v44
	v_sub_f16_e32 v3, v26, v3
	v_sub_f16_e32 v27, v20, v22
	;; [unrolled: 1-line block ×6, first 2 shown]
	v_fma_f16 v21, v26, 2.0, -v3
	v_fma_f16 v20, v20, 2.0, -v27
	;; [unrolled: 1-line block ×4, first 2 shown]
	v_add_f16_e32 v19, v17, v37
	v_add_f16_e32 v2, v3, v29
	v_sub_f16_e32 v20, v21, v20
	v_sub_f16_e32 v16, v5, v16
	v_fma_f16 v17, v17, 2.0, -v19
	v_fma_f16 v3, v3, 2.0, -v2
	ds_write_b16 v36, v19 offset:78
	v_fma_f16 v19, v21, 2.0, -v20
	v_fma_f16 v5, v5, 2.0, -v16
	ds_write_b16 v36, v17 offset:26
	ds_write_b16 v36, v16 offset:52
	ds_write_b16 v36, v5
	ds_write_b16 v35, v19
	ds_write_b16 v35, v3 offset:26
	ds_write_b16 v35, v20 offset:52
	;; [unrolled: 1-line block ×3, first 2 shown]
	s_waitcnt lgkmcnt(0)
	s_barrier
	ds_read_u16 v3, v10
	ds_read_u16 v22, v10 offset:416
	ds_read_u16 v21, v10 offset:832
	;; [unrolled: 1-line block ×6, first 2 shown]
                                        ; implicit-def: $vgpr5
	s_and_saveexec_b64 s[2:3], s[0:1]
	s_cbranch_execz .LBB0_17
; %bb.16:
	ds_read_u16 v2, v10 offset:364
	ds_read_u16 v7, v10 offset:780
	;; [unrolled: 1-line block ×7, first 2 shown]
	s_mov_b32 s4, 0x5040100
	s_waitcnt lgkmcnt(4)
	v_perm_b32 v13, v13, v7, s4
	s_waitcnt lgkmcnt(1)
	v_perm_b32 v7, v26, v25, s4
.LBB0_17:
	s_or_b64 exec, exec, s[2:3]
	v_mul_f16_sdwa v24, v24, v1 dst_sel:DWORD dst_unused:UNUSED_PAD src0_sel:DWORD src1_sel:WORD_1
	v_mul_f16_sdwa v23, v23, v4 dst_sel:DWORD dst_unused:UNUSED_PAD src0_sel:DWORD src1_sel:WORD_1
	v_fma_f16 v1, v34, v1, -v24
	v_fma_f16 v4, v33, v4, -v23
	v_sub_f16_e32 v1, v31, v1
	v_sub_f16_e32 v4, v32, v4
	v_fma_f16 v23, v31, 2.0, -v1
	v_fma_f16 v24, v30, 2.0, -v37
	;; [unrolled: 1-line block ×4, first 2 shown]
	v_sub_f16_e32 v24, v23, v24
	v_sub_f16_e32 v25, v1, v28
	;; [unrolled: 1-line block ×4, first 2 shown]
	v_fma_f16 v23, v23, 2.0, -v24
	v_fma_f16 v1, v1, 2.0, -v25
	;; [unrolled: 1-line block ×4, first 2 shown]
	s_waitcnt lgkmcnt(0)
	s_barrier
	ds_write_b16 v36, v23
	ds_write_b16 v36, v1 offset:26
	ds_write_b16 v36, v24 offset:52
	;; [unrolled: 1-line block ×3, first 2 shown]
	ds_write_b16 v35, v26
	ds_write_b16 v35, v4 offset:26
	ds_write_b16 v35, v28 offset:52
	;; [unrolled: 1-line block ×3, first 2 shown]
	s_waitcnt lgkmcnt(0)
	s_barrier
	ds_read_u16 v1, v10
	ds_read_u16 v28, v10 offset:416
	ds_read_u16 v27, v10 offset:832
	;; [unrolled: 1-line block ×6, first 2 shown]
                                        ; implicit-def: $vgpr23
	s_and_saveexec_b64 s[2:3], s[0:1]
	s_cbranch_execz .LBB0_19
; %bb.18:
	ds_read_u16 v0, v10 offset:364
	ds_read_u16 v18, v10 offset:780
	;; [unrolled: 1-line block ×7, first 2 shown]
	s_mov_b32 s4, 0x5040100
	s_waitcnt lgkmcnt(2)
	v_perm_b32 v15, v15, v14, s4
	s_waitcnt lgkmcnt(1)
	v_perm_b32 v14, v29, v30, s4
.LBB0_19:
	s_or_b64 exec, exec, s[2:3]
	s_movk_i32 s2, 0x4f
	v_mul_lo_u16_sdwa v29, v6, s2 dst_sel:DWORD dst_unused:UNUSED_PAD src0_sel:BYTE_0 src1_sel:DWORD
	v_lshrrev_b16_e32 v42, 12, v29
	s_movk_i32 s2, 0x4ec5
	v_mul_lo_u16_e32 v29, 52, v42
	v_mul_u32_u24_sdwa v34, v11, s2 dst_sel:DWORD dst_unused:UNUSED_PAD src0_sel:WORD_0 src1_sel:DWORD
	v_sub_u16_e32 v43, v6, v29
	v_mov_b32_e32 v29, 6
	v_lshrrev_b32_e32 v34, 20, v34
	v_mul_u32_u24_sdwa v29, v43, v29 dst_sel:DWORD dst_unused:UNUSED_PAD src0_sel:BYTE_0 src1_sel:DWORD
	v_mul_lo_u16_e32 v34, 52, v34
	v_lshlrev_b32_e32 v33, 2, v29
	v_sub_u16_e32 v44, v11, v34
	global_load_dwordx4 v[29:32], v33, s[8:9] offset:156
	global_load_dwordx2 v[38:39], v33, s[8:9] offset:172
	v_mul_u32_u24_e32 v33, 6, v44
	v_lshlrev_b32_e32 v33, 2, v33
	global_load_dwordx4 v[34:37], v33, s[8:9] offset:156
	global_load_dwordx2 v[40:41], v33, s[8:9] offset:172
	v_lshrrev_b32_e32 v45, 16, v13
	v_lshrrev_b32_e32 v46, 16, v14
	;; [unrolled: 1-line block ×4, first 2 shown]
	s_movk_i32 s5, 0x2b26
	s_mov_b32 s6, 0xbcab
	s_movk_i32 s7, 0x39e0
	s_mov_b32 s10, 0xb9e0
	s_mov_b32 s11, 0xb574
	s_mov_b32 s4, 0xbb00
	s_movk_i32 s17, 0x3574
	s_mov_b32 s16, 0xb70e
	s_waitcnt vmcnt(0) lgkmcnt(0)
	s_barrier
	v_mul_f16_sdwa v33, v28, v29 dst_sel:DWORD dst_unused:UNUSED_PAD src0_sel:DWORD src1_sel:WORD_1
	v_mul_f16_sdwa v49, v22, v29 dst_sel:DWORD dst_unused:UNUSED_PAD src0_sel:DWORD src1_sel:WORD_1
	v_mul_f16_sdwa v50, v27, v30 dst_sel:DWORD dst_unused:UNUSED_PAD src0_sel:DWORD src1_sel:WORD_1
	v_mul_f16_sdwa v51, v21, v30 dst_sel:DWORD dst_unused:UNUSED_PAD src0_sel:DWORD src1_sel:WORD_1
	v_mul_f16_sdwa v52, v26, v31 dst_sel:DWORD dst_unused:UNUSED_PAD src0_sel:DWORD src1_sel:WORD_1
	v_mul_f16_sdwa v53, v20, v31 dst_sel:DWORD dst_unused:UNUSED_PAD src0_sel:DWORD src1_sel:WORD_1
	v_mul_f16_sdwa v54, v25, v32 dst_sel:DWORD dst_unused:UNUSED_PAD src0_sel:DWORD src1_sel:WORD_1
	v_mul_f16_sdwa v55, v19, v32 dst_sel:DWORD dst_unused:UNUSED_PAD src0_sel:DWORD src1_sel:WORD_1
	v_mul_f16_sdwa v56, v24, v38 dst_sel:DWORD dst_unused:UNUSED_PAD src0_sel:DWORD src1_sel:WORD_1
	v_mul_f16_sdwa v58, v4, v39 dst_sel:DWORD dst_unused:UNUSED_PAD src0_sel:DWORD src1_sel:WORD_1
	v_mul_f16_sdwa v57, v17, v38 dst_sel:DWORD dst_unused:UNUSED_PAD src0_sel:DWORD src1_sel:WORD_1
	v_mul_f16_sdwa v59, v16, v39 dst_sel:DWORD dst_unused:UNUSED_PAD src0_sel:DWORD src1_sel:WORD_1
	v_mul_f16_sdwa v60, v18, v34 dst_sel:DWORD dst_unused:UNUSED_PAD src0_sel:DWORD src1_sel:WORD_1
	v_mul_f16_sdwa v62, v15, v35 dst_sel:DWORD dst_unused:UNUSED_PAD src0_sel:DWORD src1_sel:WORD_1
	v_mul_f16_sdwa v63, v45, v35 dst_sel:DWORD dst_unused:UNUSED_PAD src0_sel:DWORD src1_sel:WORD_1
	v_mul_f16_sdwa v71, v5, v41 dst_sel:DWORD dst_unused:UNUSED_PAD src0_sel:DWORD src1_sel:WORD_1
	v_fma_f16 v22, v22, v29, v33
	v_fma_f16 v28, v28, v29, -v49
	v_fma_f16 v21, v21, v30, v50
	v_fma_f16 v29, v27, v30, -v51
	;; [unrolled: 2-line block ×4, first 2 shown]
	v_fma_f16 v31, v17, v38, v56
	v_fma_f16 v32, v16, v39, v58
	v_mul_f16_sdwa v61, v13, v34 dst_sel:DWORD dst_unused:UNUSED_PAD src0_sel:DWORD src1_sel:WORD_1
	v_mul_f16_sdwa v64, v46, v36 dst_sel:DWORD dst_unused:UNUSED_PAD src0_sel:DWORD src1_sel:WORD_1
	;; [unrolled: 1-line block ×6, first 2 shown]
	v_fma_f16 v24, v24, v38, -v57
	v_fma_f16 v33, v4, v39, -v59
	v_fma_f16 v4, v13, v34, v60
	v_fma_f16 v13, v45, v35, v62
	v_fma_f16 v15, v15, v35, -v63
	v_fma_f16 v20, v23, v41, -v71
	v_add_f16_e32 v23, v22, v32
	v_add_f16_e32 v35, v21, v31
	v_mul_f16_sdwa v68, v14, v40 dst_sel:DWORD dst_unused:UNUSED_PAD src0_sel:DWORD src1_sel:WORD_1
	v_mul_f16_sdwa v69, v48, v40 dst_sel:DWORD dst_unused:UNUSED_PAD src0_sel:DWORD src1_sel:WORD_1
	v_fma_f16 v16, v18, v34, -v61
	v_fma_f16 v12, v12, v36, v64
	v_fma_f16 v17, v46, v36, -v65
	v_fma_f16 v7, v7, v37, v66
	v_fma_f16 v18, v47, v37, -v67
	v_sub_f16_e32 v36, v29, v24
	v_add_f16_e32 v37, v27, v30
	v_sub_f16_e32 v38, v25, v26
	v_add_f16_e32 v39, v35, v23
	v_fma_f16 v19, v48, v40, v68
	v_fma_f16 v14, v14, v40, -v69
	v_fma_f16 v5, v5, v41, v70
	v_sub_f16_e32 v34, v28, v33
	v_sub_f16_e32 v40, v35, v23
	;; [unrolled: 1-line block ×4, first 2 shown]
	v_add_f16_e32 v41, v38, v36
	v_sub_f16_e32 v45, v38, v36
	v_add_f16_e32 v37, v37, v39
	v_sub_f16_e32 v38, v34, v38
	v_sub_f16_e32 v36, v36, v34
	v_add_f16_e32 v34, v41, v34
	v_mul_f16_e32 v23, 0x3a52, v23
	v_mul_f16_e32 v39, 0x2b26, v35
	;; [unrolled: 1-line block ×3, first 2 shown]
	v_add_f16_e32 v3, v3, v37
	v_mul_f16_e32 v45, 0xbb00, v36
	v_fma_f16 v37, v37, s6, v3
	v_fma_f16 v35, v35, s5, v23
	v_fma_f16 v39, v40, s7, -v39
	v_fma_f16 v23, v40, s10, -v23
	v_fma_f16 v40, v38, s11, v41
	v_fma_f16 v36, v36, s4, -v41
	v_fma_f16 v38, v38, s17, -v45
	v_add_f16_e32 v35, v35, v37
	v_add_f16_e32 v39, v39, v37
	;; [unrolled: 1-line block ×3, first 2 shown]
	v_fma_f16 v37, v34, s16, v40
	v_fma_f16 v36, v34, s16, v36
	;; [unrolled: 1-line block ×3, first 2 shown]
	v_add_f16_e32 v38, v37, v35
	v_sub_f16_e32 v35, v35, v37
	v_mov_b32_e32 v37, 1
	v_add_f16_e32 v40, v34, v23
	v_sub_f16_e32 v23, v23, v34
	v_mul_u32_u24_e32 v34, 0x2d8, v42
	v_lshlrev_b32_sdwa v37, v37, v43 dst_sel:DWORD dst_unused:UNUSED_PAD src0_sel:DWORD src1_sel:BYTE_0
	v_add3_u32 v34, 0, v34, v37
	v_sub_f16_e32 v41, v39, v36
	v_add_f16_e32 v36, v36, v39
	ds_write_b16 v34, v3
	ds_write_b16 v34, v38 offset:104
	ds_write_b16 v34, v40 offset:208
	;; [unrolled: 1-line block ×6, first 2 shown]
	v_lshl_add_u32 v3, v44, 1, 0
	s_and_saveexec_b64 s[2:3], s[0:1]
	s_cbranch_execz .LBB0_21
; %bb.20:
	v_add_f16_e32 v23, v4, v5
	v_add_f16_e32 v37, v13, v19
	;; [unrolled: 1-line block ×4, first 2 shown]
	v_sub_f16_e32 v36, v23, v35
	v_sub_f16_e32 v38, v35, v37
	v_add_f16_e32 v35, v35, v40
	v_sub_f16_e32 v40, v16, v20
	v_sub_f16_e32 v41, v18, v17
	;; [unrolled: 1-line block ×5, first 2 shown]
	v_add_f16_e32 v41, v41, v43
	v_sub_f16_e32 v23, v37, v23
	v_sub_f16_e32 v37, v43, v40
	v_mul_f16_e32 v36, 0x3a52, v36
	v_mul_f16_e32 v39, 0x2b26, v38
	v_add_f16_e32 v2, v2, v35
	v_mul_f16_e32 v44, 0x3846, v44
	v_add_f16_e32 v41, v41, v40
	v_mul_f16_e32 v40, 0xbb00, v37
	v_fma_f16 v38, v38, s5, v36
	v_fma_f16 v35, v35, s6, v2
	;; [unrolled: 1-line block ×3, first 2 shown]
	v_fma_f16 v36, v23, s10, -v36
	v_fma_f16 v40, v42, s17, -v40
	;; [unrolled: 1-line block ×4, first 2 shown]
	v_add_f16_e32 v38, v38, v35
	v_fma_f16 v45, v41, s16, v45
	v_add_f16_e32 v36, v36, v35
	v_fma_f16 v40, v41, s16, v40
	v_fma_f16 v37, v41, s16, v37
	v_add_f16_e32 v23, v23, v35
	v_sub_f16_e32 v46, v38, v45
	v_sub_f16_e32 v42, v36, v40
	v_add_f16_e32 v35, v37, v23
	v_sub_f16_e32 v23, v23, v37
	v_add_f16_e32 v36, v40, v36
	v_add_f16_e32 v37, v45, v38
	ds_write_b16 v3, v2 offset:2184
	ds_write_b16 v3, v37 offset:2288
	;; [unrolled: 1-line block ×7, first 2 shown]
.LBB0_21:
	s_or_b64 exec, exec, s[2:3]
	v_add_f16_e32 v2, v28, v33
	v_add_f16_e32 v23, v29, v24
	v_sub_f16_e32 v22, v22, v32
	v_sub_f16_e32 v21, v21, v31
	v_add_f16_e32 v24, v26, v25
	v_sub_f16_e32 v25, v30, v27
	v_add_f16_e32 v26, v23, v2
	v_sub_f16_e32 v27, v23, v2
	v_sub_f16_e32 v2, v2, v24
	;; [unrolled: 1-line block ×3, first 2 shown]
	v_add_f16_e32 v28, v25, v21
	v_sub_f16_e32 v29, v25, v21
	v_sub_f16_e32 v21, v21, v22
	v_add_f16_e32 v24, v24, v26
	v_sub_f16_e32 v25, v22, v25
	v_add_f16_e32 v22, v28, v22
	v_add_f16_e32 v1, v1, v24
	v_mul_f16_e32 v2, 0x3a52, v2
	v_mul_f16_e32 v26, 0x2b26, v23
	;; [unrolled: 1-line block ×4, first 2 shown]
	v_fma_f16 v24, v24, s6, v1
	v_fma_f16 v23, v23, s5, v2
	v_fma_f16 v26, v27, s7, -v26
	v_fma_f16 v2, v27, s10, -v2
	v_fma_f16 v27, v25, s11, v28
	v_fma_f16 v21, v21, s4, -v28
	v_fma_f16 v25, v25, s17, -v29
	v_add_f16_e32 v23, v23, v24
	v_add_f16_e32 v26, v26, v24
	;; [unrolled: 1-line block ×3, first 2 shown]
	v_fma_f16 v24, v22, s16, v27
	v_fma_f16 v21, v22, s16, v21
	;; [unrolled: 1-line block ×3, first 2 shown]
	v_sub_f16_e32 v28, v23, v24
	v_sub_f16_e32 v29, v2, v22
	v_add_f16_e32 v30, v21, v26
	v_sub_f16_e32 v31, v26, v21
	v_add_f16_e32 v32, v22, v2
	v_add_f16_e32 v33, v24, v23
	s_waitcnt lgkmcnt(0)
	s_barrier
	ds_read_u16 v2, v10
	ds_read_u16 v21, v10 offset:364
	ds_read_u16 v22, v10 offset:728
	;; [unrolled: 1-line block ×7, first 2 shown]
	s_waitcnt lgkmcnt(0)
	s_barrier
	ds_write_b16 v34, v1
	ds_write_b16 v34, v28 offset:104
	ds_write_b16 v34, v29 offset:208
	;; [unrolled: 1-line block ×6, first 2 shown]
	s_and_saveexec_b64 s[2:3], s[0:1]
	s_cbranch_execz .LBB0_23
; %bb.22:
	v_add_f16_e32 v1, v16, v20
	v_sub_f16_e32 v4, v4, v5
	v_add_f16_e32 v5, v15, v14
	v_add_f16_e32 v14, v17, v18
	v_sub_f16_e32 v7, v7, v12
	v_add_f16_e32 v12, v5, v1
	v_sub_f16_e32 v15, v5, v1
	v_sub_f16_e32 v1, v1, v14
	;; [unrolled: 1-line block ×3, first 2 shown]
	v_mul_f16_e32 v1, 0x3a52, v1
	s_movk_i32 s0, 0x2b26
	v_sub_f16_e32 v13, v13, v19
	v_add_f16_e32 v12, v14, v12
	v_mul_f16_e32 v14, 0x2b26, v5
	v_fma_f16 v5, v5, s0, v1
	s_movk_i32 s0, 0x39e0
	v_add_f16_e32 v16, v7, v13
	v_sub_f16_e32 v17, v7, v13
	v_fma_f16 v14, v15, s0, -v14
	s_mov_b32 s0, 0xb9e0
	v_sub_f16_e32 v7, v4, v7
	v_sub_f16_e32 v13, v13, v4
	v_add_f16_e32 v4, v16, v4
	v_mul_f16_e32 v16, 0x3846, v17
	v_fma_f16 v1, v15, s0, -v1
	s_mov_b32 s0, 0xb574
	v_add_f16_e32 v0, v0, v12
	s_mov_b32 s1, 0xbb00
	v_mul_f16_e32 v17, 0xbb00, v13
	s_mov_b32 s4, 0xbcab
	v_fma_f16 v15, v7, s0, v16
	s_movk_i32 s0, 0x3574
	v_fma_f16 v12, v12, s4, v0
	v_fma_f16 v13, v13, s1, -v16
	v_fma_f16 v7, v7, s0, -v17
	s_mov_b32 s0, 0xb70e
	v_add_f16_e32 v5, v5, v12
	v_add_f16_e32 v14, v14, v12
	;; [unrolled: 1-line block ×3, first 2 shown]
	v_fma_f16 v12, v4, s0, v15
	v_fma_f16 v13, v4, s0, v13
	;; [unrolled: 1-line block ×3, first 2 shown]
	v_sub_f16_e32 v7, v5, v12
	v_sub_f16_e32 v15, v1, v4
	v_add_f16_e32 v16, v13, v14
	v_sub_f16_e32 v13, v14, v13
	v_add_f16_e32 v1, v4, v1
	v_add_f16_e32 v4, v12, v5
	ds_write_b16 v3, v0 offset:2184
	ds_write_b16 v3, v7 offset:2288
	ds_write_b16 v3, v15 offset:2392
	ds_write_b16 v3, v16 offset:2496
	ds_write_b16 v3, v13 offset:2600
	ds_write_b16 v3, v1 offset:2704
	ds_write_b16 v3, v4 offset:2808
.LBB0_23:
	s_or_b64 exec, exec, s[2:3]
	v_mov_b32_e32 v7, 0
	v_lshlrev_b64 v[0:1], 2, v[6:7]
	v_mov_b32_e32 v3, s9
	v_add_co_u32_e64 v0, s[0:1], s8, v0
	v_addc_co_u32_e64 v1, s[0:1], v3, v1, s[0:1]
	s_waitcnt lgkmcnt(0)
	s_barrier
	global_load_dword v3, v[0:1], off offset:1404
	global_load_dword v4, v[0:1], off offset:2132
	ds_read_u16 v5, v10
	ds_read_u16 v7, v10 offset:364
	ds_read_u16 v12, v10 offset:728
	;; [unrolled: 1-line block ×7, first 2 shown]
	s_waitcnt vmcnt(0) lgkmcnt(0)
	s_barrier
	v_mul_f16_sdwa v18, v16, v3 dst_sel:DWORD dst_unused:UNUSED_PAD src0_sel:DWORD src1_sel:WORD_1
	v_mul_f16_sdwa v19, v27, v3 dst_sel:DWORD dst_unused:UNUSED_PAD src0_sel:DWORD src1_sel:WORD_1
	;; [unrolled: 1-line block ×8, first 2 shown]
	v_fma_f16 v18, v27, v3, v18
	v_fma_f16 v16, v16, v3, -v19
	v_fma_f16 v19, v26, v4, v20
	v_fma_f16 v13, v13, v4, -v28
	;; [unrolled: 2-line block ×4, first 2 shown]
	v_sub_f16_e32 v15, v2, v18
	v_sub_f16_e32 v16, v5, v16
	;; [unrolled: 1-line block ×8, first 2 shown]
	v_fma_f16 v2, v2, 2.0, -v15
	v_fma_f16 v25, v5, 2.0, -v16
	;; [unrolled: 1-line block ×7, first 2 shown]
	ds_write_b16 v10, v15 offset:728
	ds_write_b16 v10, v18 offset:1092
	;; [unrolled: 1-line block ×4, first 2 shown]
	ds_write_b16 v10, v2
	ds_write_b16 v10, v4 offset:364
	ds_write_b16 v10, v5 offset:1456
	;; [unrolled: 1-line block ×3, first 2 shown]
	s_waitcnt lgkmcnt(0)
	s_barrier
	ds_read_u16 v2, v10
	ds_read_u16 v3, v10 offset:364
	ds_read_u16 v4, v10 offset:728
	;; [unrolled: 1-line block ×7, first 2 shown]
	v_fma_f16 v17, v17, 2.0, -v24
	s_waitcnt lgkmcnt(0)
	s_barrier
	ds_write_b16 v10, v25
	ds_write_b16 v10, v16 offset:728
	ds_write_b16 v10, v21 offset:364
	;; [unrolled: 1-line block ×7, first 2 shown]
	s_waitcnt lgkmcnt(0)
	s_barrier
	s_and_saveexec_b64 s[0:1], vcc
	s_cbranch_execz .LBB0_25
; %bb.24:
	v_add_co_u32_e32 v15, vcc, 0x1000, v0
	v_addc_co_u32_e32 v16, vcc, 0, v1, vcc
	global_load_dword v19, v[15:16], off offset:948
	global_load_dword v20, v[15:16], off offset:220
	;; [unrolled: 1-line block ×4, first 2 shown]
	ds_read_u16 v23, v10 offset:2548
	ds_read_u16 v24, v10 offset:2184
	;; [unrolled: 1-line block ×7, first 2 shown]
	ds_read_u16 v30, v10
	v_mov_b32_e32 v10, s15
	v_add_u32_e32 v18, 0x2d8, v6
	v_add_co_u32_e32 v31, vcc, s14, v8
	v_mad_u64_u32 v[0:1], s[0:1], s12, v6, 0
	v_mad_u64_u32 v[15:16], s[0:1], s12, v11, 0
	v_addc_co_u32_e32 v32, vcc, v10, v9, vcc
	v_mad_u64_u32 v[8:9], s[0:1], s12, v18, 0
	v_mov_b32_e32 v10, v16
	v_mad_u64_u32 v[16:17], s[0:1], s13, v6, v[1:2]
	v_mov_b32_e32 v1, v9
	v_mad_u64_u32 v[17:18], s[0:1], s13, v18, v[1:2]
	v_mad_u64_u32 v[10:11], s[0:1], s13, v11, v[10:11]
	v_mov_b32_e32 v1, v16
	v_mov_b32_e32 v9, v17
	v_lshlrev_b64 v[0:1], 2, v[0:1]
	v_lshlrev_b64 v[8:9], 2, v[8:9]
	v_add_co_u32_e32 v0, vcc, v31, v0
	v_addc_co_u32_e32 v1, vcc, v32, v1, vcc
	v_add_co_u32_e32 v8, vcc, v31, v8
	v_addc_co_u32_e32 v9, vcc, v32, v9, vcc
	s_mov_b32 s3, 0x16816817
	s_movk_i32 s2, 0x2d8
	s_waitcnt vmcnt(3)
	v_lshrrev_b32_e32 v11, 16, v19
	v_mul_f16_e32 v16, v14, v19
	s_waitcnt vmcnt(2)
	v_lshrrev_b32_e32 v17, 16, v20
	v_mul_f16_e32 v18, v13, v20
	;; [unrolled: 3-line block ×3, first 2 shown]
	s_waitcnt lgkmcnt(7)
	v_fma_f16 v16, v23, v11, v16
	v_mul_f16_e32 v11, v14, v11
	s_waitcnt lgkmcnt(6)
	v_fma_f16 v14, v24, v17, v18
	v_mul_f16_e32 v12, v12, v35
	v_lshrrev_b32_e32 v33, 16, v21
	v_mul_f16_e32 v34, v7, v21
	s_waitcnt lgkmcnt(4)
	v_fma_f16 v18, v26, v35, v36
	v_sub_f16_e32 v14, v4, v14
	v_fma_f16 v12, v26, v22, -v12
	v_mul_f16_e32 v13, v13, v17
	v_fma_f16 v17, v25, v33, v34
	v_mul_f16_e32 v7, v7, v33
	v_sub_f16_e32 v33, v5, v16
	v_fma_f16 v11, v23, v19, -v11
	v_sub_f16_e32 v16, v2, v18
	v_fma_f16 v19, v4, 2.0, -v14
	s_waitcnt lgkmcnt(0)
	v_sub_f16_e32 v4, v30, v12
	v_fma_f16 v7, v25, v21, -v7
	v_fma_f16 v2, v2, 2.0, -v16
	v_fma_f16 v21, v30, 2.0, -v4
	v_sub_f16_e32 v17, v3, v17
	v_sub_f16_e32 v7, v29, v7
	v_pack_b32_f16 v2, v2, v21
	v_fma_f16 v18, v5, 2.0, -v33
	v_fma_f16 v3, v3, 2.0, -v17
	;; [unrolled: 1-line block ×3, first 2 shown]
	global_store_dword v[0:1], v2, off
	v_pack_b32_f16 v0, v16, v4
	global_store_dword v[8:9], v0, off
	v_pack_b32_f16 v8, v3, v5
	v_add_u32_e32 v4, 0x38e, v6
	v_add_u32_e32 v5, 0x16c, v6
	v_mad_u64_u32 v[2:3], s[0:1], s12, v4, 0
	v_lshrrev_b32_e32 v9, 3, v5
	v_mul_hi_u32 v9, v9, s3
	v_mad_u64_u32 v[3:4], s[0:1], s13, v4, v[3:4]
	v_mov_b32_e32 v16, v10
	v_lshrrev_b32_e32 v4, 3, v9
	v_mad_u32_u24 v9, v4, s2, v5
	v_lshlrev_b64 v[0:1], 2, v[15:16]
	v_mad_u64_u32 v[4:5], s[0:1], s12, v9, 0
	v_add_co_u32_e32 v0, vcc, v31, v0
	v_addc_co_u32_e32 v1, vcc, v32, v1, vcc
	global_store_dword v[0:1], v8, off
	v_lshlrev_b64 v[0:1], 2, v[2:3]
	v_mov_b32_e32 v2, v5
	v_mad_u64_u32 v[2:3], s[0:1], s13, v9, v[2:3]
	v_add_co_u32_e32 v0, vcc, v31, v0
	v_addc_co_u32_e32 v1, vcc, v32, v1, vcc
	v_pack_b32_f16 v3, v17, v7
	v_mov_b32_e32 v5, v2
	global_store_dword v[0:1], v3, off
	v_lshlrev_b64 v[0:1], 2, v[4:5]
	v_add_u32_e32 v4, 0x2d8, v9
	v_mad_u64_u32 v[2:3], s[0:1], s12, v4, 0
	v_fma_f16 v13, v24, v20, -v13
	v_sub_f16_e32 v13, v28, v13
	v_mad_u64_u32 v[3:4], s[0:1], s13, v4, v[3:4]
	v_add_u32_e32 v4, 0x222, v6
	v_lshrrev_b32_e32 v6, 3, v4
	v_mul_hi_u32 v6, v6, s3
	v_fma_f16 v20, v28, 2.0, -v13
	v_add_co_u32_e32 v0, vcc, v31, v0
	v_addc_co_u32_e32 v1, vcc, v32, v1, vcc
	v_pack_b32_f16 v5, v19, v20
	global_store_dword v[0:1], v5, off
	v_lshlrev_b64 v[0:1], 2, v[2:3]
	v_lshrrev_b32_e32 v2, 3, v6
	v_mad_u32_u24 v5, v2, s2, v4
	v_mad_u64_u32 v[2:3], s[0:1], s12, v5, 0
	v_add_u32_e32 v7, 0x2d8, v5
	v_add_co_u32_e32 v0, vcc, v31, v0
	v_mad_u64_u32 v[3:4], s[0:1], s13, v5, v[3:4]
	v_mad_u64_u32 v[4:5], s[0:1], s12, v7, 0
	v_addc_co_u32_e32 v1, vcc, v32, v1, vcc
	v_pack_b32_f16 v6, v14, v13
	global_store_dword v[0:1], v6, off
	v_lshlrev_b64 v[0:1], 2, v[2:3]
	v_mov_b32_e32 v2, v5
	v_mad_u64_u32 v[2:3], s[0:1], s13, v7, v[2:3]
	v_sub_f16_e32 v11, v27, v11
	v_fma_f16 v12, v27, 2.0, -v11
	v_add_co_u32_e32 v0, vcc, v31, v0
	v_addc_co_u32_e32 v1, vcc, v32, v1, vcc
	v_pack_b32_f16 v3, v18, v12
	v_mov_b32_e32 v5, v2
	global_store_dword v[0:1], v3, off
	v_lshlrev_b64 v[0:1], 2, v[4:5]
	v_pack_b32_f16 v2, v33, v11
	v_add_co_u32_e32 v0, vcc, v31, v0
	v_addc_co_u32_e32 v1, vcc, v32, v1, vcc
	global_store_dword v[0:1], v2, off
.LBB0_25:
	s_endpgm
	.section	.rodata,"a",@progbits
	.p2align	6, 0x0
	.amdhsa_kernel fft_rtc_back_len1456_factors_13_4_7_2_2_wgs_182_tpt_182_halfLds_half_ip_CI_sbrr_dirReg
		.amdhsa_group_segment_fixed_size 0
		.amdhsa_private_segment_fixed_size 0
		.amdhsa_kernarg_size 88
		.amdhsa_user_sgpr_count 6
		.amdhsa_user_sgpr_private_segment_buffer 1
		.amdhsa_user_sgpr_dispatch_ptr 0
		.amdhsa_user_sgpr_queue_ptr 0
		.amdhsa_user_sgpr_kernarg_segment_ptr 1
		.amdhsa_user_sgpr_dispatch_id 0
		.amdhsa_user_sgpr_flat_scratch_init 0
		.amdhsa_user_sgpr_private_segment_size 0
		.amdhsa_uses_dynamic_stack 0
		.amdhsa_system_sgpr_private_segment_wavefront_offset 0
		.amdhsa_system_sgpr_workgroup_id_x 1
		.amdhsa_system_sgpr_workgroup_id_y 0
		.amdhsa_system_sgpr_workgroup_id_z 0
		.amdhsa_system_sgpr_workgroup_info 0
		.amdhsa_system_vgpr_workitem_id 0
		.amdhsa_next_free_vgpr 80
		.amdhsa_next_free_sgpr 28
		.amdhsa_reserve_vcc 1
		.amdhsa_reserve_flat_scratch 0
		.amdhsa_float_round_mode_32 0
		.amdhsa_float_round_mode_16_64 0
		.amdhsa_float_denorm_mode_32 3
		.amdhsa_float_denorm_mode_16_64 3
		.amdhsa_dx10_clamp 1
		.amdhsa_ieee_mode 1
		.amdhsa_fp16_overflow 0
		.amdhsa_exception_fp_ieee_invalid_op 0
		.amdhsa_exception_fp_denorm_src 0
		.amdhsa_exception_fp_ieee_div_zero 0
		.amdhsa_exception_fp_ieee_overflow 0
		.amdhsa_exception_fp_ieee_underflow 0
		.amdhsa_exception_fp_ieee_inexact 0
		.amdhsa_exception_int_div_zero 0
	.end_amdhsa_kernel
	.text
.Lfunc_end0:
	.size	fft_rtc_back_len1456_factors_13_4_7_2_2_wgs_182_tpt_182_halfLds_half_ip_CI_sbrr_dirReg, .Lfunc_end0-fft_rtc_back_len1456_factors_13_4_7_2_2_wgs_182_tpt_182_halfLds_half_ip_CI_sbrr_dirReg
                                        ; -- End function
	.section	.AMDGPU.csdata,"",@progbits
; Kernel info:
; codeLenInByte = 9780
; NumSgprs: 32
; NumVgprs: 80
; ScratchSize: 0
; MemoryBound: 0
; FloatMode: 240
; IeeeMode: 1
; LDSByteSize: 0 bytes/workgroup (compile time only)
; SGPRBlocks: 3
; VGPRBlocks: 19
; NumSGPRsForWavesPerEU: 32
; NumVGPRsForWavesPerEU: 80
; Occupancy: 3
; WaveLimiterHint : 1
; COMPUTE_PGM_RSRC2:SCRATCH_EN: 0
; COMPUTE_PGM_RSRC2:USER_SGPR: 6
; COMPUTE_PGM_RSRC2:TRAP_HANDLER: 0
; COMPUTE_PGM_RSRC2:TGID_X_EN: 1
; COMPUTE_PGM_RSRC2:TGID_Y_EN: 0
; COMPUTE_PGM_RSRC2:TGID_Z_EN: 0
; COMPUTE_PGM_RSRC2:TIDIG_COMP_CNT: 0
	.type	__hip_cuid_76db6c5ab5c9f849,@object ; @__hip_cuid_76db6c5ab5c9f849
	.section	.bss,"aw",@nobits
	.globl	__hip_cuid_76db6c5ab5c9f849
__hip_cuid_76db6c5ab5c9f849:
	.byte	0                               ; 0x0
	.size	__hip_cuid_76db6c5ab5c9f849, 1

	.ident	"AMD clang version 19.0.0git (https://github.com/RadeonOpenCompute/llvm-project roc-6.4.0 25133 c7fe45cf4b819c5991fe208aaa96edf142730f1d)"
	.section	".note.GNU-stack","",@progbits
	.addrsig
	.addrsig_sym __hip_cuid_76db6c5ab5c9f849
	.amdgpu_metadata
---
amdhsa.kernels:
  - .args:
      - .actual_access:  read_only
        .address_space:  global
        .offset:         0
        .size:           8
        .value_kind:     global_buffer
      - .offset:         8
        .size:           8
        .value_kind:     by_value
      - .actual_access:  read_only
        .address_space:  global
        .offset:         16
        .size:           8
        .value_kind:     global_buffer
      - .actual_access:  read_only
        .address_space:  global
        .offset:         24
        .size:           8
        .value_kind:     global_buffer
      - .offset:         32
        .size:           8
        .value_kind:     by_value
      - .actual_access:  read_only
        .address_space:  global
        .offset:         40
        .size:           8
        .value_kind:     global_buffer
      - .actual_access:  read_only
        .address_space:  global
        .offset:         48
        .size:           8
        .value_kind:     global_buffer
      - .offset:         56
        .size:           4
        .value_kind:     by_value
      - .actual_access:  read_only
        .address_space:  global
        .offset:         64
        .size:           8
        .value_kind:     global_buffer
      - .actual_access:  read_only
        .address_space:  global
        .offset:         72
        .size:           8
        .value_kind:     global_buffer
      - .address_space:  global
        .offset:         80
        .size:           8
        .value_kind:     global_buffer
    .group_segment_fixed_size: 0
    .kernarg_segment_align: 8
    .kernarg_segment_size: 88
    .language:       OpenCL C
    .language_version:
      - 2
      - 0
    .max_flat_workgroup_size: 182
    .name:           fft_rtc_back_len1456_factors_13_4_7_2_2_wgs_182_tpt_182_halfLds_half_ip_CI_sbrr_dirReg
    .private_segment_fixed_size: 0
    .sgpr_count:     32
    .sgpr_spill_count: 0
    .symbol:         fft_rtc_back_len1456_factors_13_4_7_2_2_wgs_182_tpt_182_halfLds_half_ip_CI_sbrr_dirReg.kd
    .uniform_work_group_size: 1
    .uses_dynamic_stack: false
    .vgpr_count:     80
    .vgpr_spill_count: 0
    .wavefront_size: 64
amdhsa.target:   amdgcn-amd-amdhsa--gfx906
amdhsa.version:
  - 1
  - 2
...

	.end_amdgpu_metadata
